;; amdgpu-corpus repo=ROCm/rocFFT kind=compiled arch=gfx906 opt=O3
	.text
	.amdgcn_target "amdgcn-amd-amdhsa--gfx906"
	.amdhsa_code_object_version 6
	.protected	fft_rtc_back_len1024_factors_8_8_4_4_wgs_128_tpt_128_halfLds_sp_ip_CI_unitstride_sbrr_R2C_dirReg ; -- Begin function fft_rtc_back_len1024_factors_8_8_4_4_wgs_128_tpt_128_halfLds_sp_ip_CI_unitstride_sbrr_R2C_dirReg
	.globl	fft_rtc_back_len1024_factors_8_8_4_4_wgs_128_tpt_128_halfLds_sp_ip_CI_unitstride_sbrr_R2C_dirReg
	.p2align	8
	.type	fft_rtc_back_len1024_factors_8_8_4_4_wgs_128_tpt_128_halfLds_sp_ip_CI_unitstride_sbrr_R2C_dirReg,@function
fft_rtc_back_len1024_factors_8_8_4_4_wgs_128_tpt_128_halfLds_sp_ip_CI_unitstride_sbrr_R2C_dirReg: ; @fft_rtc_back_len1024_factors_8_8_4_4_wgs_128_tpt_128_halfLds_sp_ip_CI_unitstride_sbrr_R2C_dirReg
; %bb.0:
	s_load_dwordx4 s[8:11], s[4:5], 0x0
	s_load_dwordx2 s[2:3], s[4:5], 0x50
	s_load_dwordx2 s[12:13], s[4:5], 0x18
	v_mov_b32_e32 v3, 0
	v_mov_b32_e32 v1, 0
	s_waitcnt lgkmcnt(0)
	v_cmp_lt_u64_e64 s[0:1], s[10:11], 2
	v_mov_b32_e32 v5, s6
	v_mov_b32_e32 v6, v3
	s_and_b64 vcc, exec, s[0:1]
	v_mov_b32_e32 v2, 0
	s_cbranch_vccnz .LBB0_8
; %bb.1:
	s_load_dwordx2 s[0:1], s[4:5], 0x10
	s_add_u32 s6, s12, 8
	s_addc_u32 s7, s13, 0
	v_mov_b32_e32 v1, 0
	v_mov_b32_e32 v2, 0
	s_waitcnt lgkmcnt(0)
	s_add_u32 s14, s0, 8
	s_addc_u32 s15, s1, 0
	s_mov_b64 s[16:17], 1
.LBB0_2:                                ; =>This Inner Loop Header: Depth=1
	s_load_dwordx2 s[18:19], s[14:15], 0x0
                                        ; implicit-def: $vgpr7_vgpr8
	s_waitcnt lgkmcnt(0)
	v_or_b32_e32 v4, s19, v6
	v_cmp_ne_u64_e32 vcc, 0, v[3:4]
	s_and_saveexec_b64 s[0:1], vcc
	s_xor_b64 s[20:21], exec, s[0:1]
	s_cbranch_execz .LBB0_4
; %bb.3:                                ;   in Loop: Header=BB0_2 Depth=1
	v_cvt_f32_u32_e32 v4, s18
	v_cvt_f32_u32_e32 v7, s19
	s_sub_u32 s0, 0, s18
	s_subb_u32 s1, 0, s19
	v_mac_f32_e32 v4, 0x4f800000, v7
	v_rcp_f32_e32 v4, v4
	v_mul_f32_e32 v4, 0x5f7ffffc, v4
	v_mul_f32_e32 v7, 0x2f800000, v4
	v_trunc_f32_e32 v7, v7
	v_mac_f32_e32 v4, 0xcf800000, v7
	v_cvt_u32_f32_e32 v7, v7
	v_cvt_u32_f32_e32 v4, v4
	v_mul_lo_u32 v8, s0, v7
	v_mul_hi_u32 v9, s0, v4
	v_mul_lo_u32 v11, s1, v4
	v_mul_lo_u32 v10, s0, v4
	v_add_u32_e32 v8, v9, v8
	v_add_u32_e32 v8, v8, v11
	v_mul_hi_u32 v9, v4, v10
	v_mul_lo_u32 v11, v4, v8
	v_mul_hi_u32 v13, v4, v8
	v_mul_hi_u32 v12, v7, v10
	v_mul_lo_u32 v10, v7, v10
	v_mul_hi_u32 v14, v7, v8
	v_add_co_u32_e32 v9, vcc, v9, v11
	v_addc_co_u32_e32 v11, vcc, 0, v13, vcc
	v_mul_lo_u32 v8, v7, v8
	v_add_co_u32_e32 v9, vcc, v9, v10
	v_addc_co_u32_e32 v9, vcc, v11, v12, vcc
	v_addc_co_u32_e32 v10, vcc, 0, v14, vcc
	v_add_co_u32_e32 v8, vcc, v9, v8
	v_addc_co_u32_e32 v9, vcc, 0, v10, vcc
	v_add_co_u32_e32 v4, vcc, v4, v8
	v_addc_co_u32_e32 v7, vcc, v7, v9, vcc
	v_mul_lo_u32 v8, s0, v7
	v_mul_hi_u32 v9, s0, v4
	v_mul_lo_u32 v10, s1, v4
	v_mul_lo_u32 v11, s0, v4
	v_add_u32_e32 v8, v9, v8
	v_add_u32_e32 v8, v8, v10
	v_mul_lo_u32 v12, v4, v8
	v_mul_hi_u32 v13, v4, v11
	v_mul_hi_u32 v14, v4, v8
	;; [unrolled: 1-line block ×3, first 2 shown]
	v_mul_lo_u32 v11, v7, v11
	v_mul_hi_u32 v9, v7, v8
	v_add_co_u32_e32 v12, vcc, v13, v12
	v_addc_co_u32_e32 v13, vcc, 0, v14, vcc
	v_mul_lo_u32 v8, v7, v8
	v_add_co_u32_e32 v11, vcc, v12, v11
	v_addc_co_u32_e32 v10, vcc, v13, v10, vcc
	v_addc_co_u32_e32 v9, vcc, 0, v9, vcc
	v_add_co_u32_e32 v8, vcc, v10, v8
	v_addc_co_u32_e32 v9, vcc, 0, v9, vcc
	v_add_co_u32_e32 v4, vcc, v4, v8
	v_addc_co_u32_e32 v9, vcc, v7, v9, vcc
	v_mad_u64_u32 v[7:8], s[0:1], v5, v9, 0
	v_mul_hi_u32 v10, v5, v4
	v_add_co_u32_e32 v11, vcc, v10, v7
	v_addc_co_u32_e32 v12, vcc, 0, v8, vcc
	v_mad_u64_u32 v[7:8], s[0:1], v6, v4, 0
	v_mad_u64_u32 v[9:10], s[0:1], v6, v9, 0
	v_add_co_u32_e32 v4, vcc, v11, v7
	v_addc_co_u32_e32 v4, vcc, v12, v8, vcc
	v_addc_co_u32_e32 v7, vcc, 0, v10, vcc
	v_add_co_u32_e32 v4, vcc, v4, v9
	v_addc_co_u32_e32 v9, vcc, 0, v7, vcc
	v_mul_lo_u32 v10, s19, v4
	v_mul_lo_u32 v11, s18, v9
	v_mad_u64_u32 v[7:8], s[0:1], s18, v4, 0
	v_add3_u32 v8, v8, v11, v10
	v_sub_u32_e32 v10, v6, v8
	v_mov_b32_e32 v11, s19
	v_sub_co_u32_e32 v7, vcc, v5, v7
	v_subb_co_u32_e64 v10, s[0:1], v10, v11, vcc
	v_subrev_co_u32_e64 v11, s[0:1], s18, v7
	v_subbrev_co_u32_e64 v10, s[0:1], 0, v10, s[0:1]
	v_cmp_le_u32_e64 s[0:1], s19, v10
	v_cndmask_b32_e64 v12, 0, -1, s[0:1]
	v_cmp_le_u32_e64 s[0:1], s18, v11
	v_cndmask_b32_e64 v11, 0, -1, s[0:1]
	v_cmp_eq_u32_e64 s[0:1], s19, v10
	v_cndmask_b32_e64 v10, v12, v11, s[0:1]
	v_add_co_u32_e64 v11, s[0:1], 2, v4
	v_addc_co_u32_e64 v12, s[0:1], 0, v9, s[0:1]
	v_add_co_u32_e64 v13, s[0:1], 1, v4
	v_addc_co_u32_e64 v14, s[0:1], 0, v9, s[0:1]
	v_subb_co_u32_e32 v8, vcc, v6, v8, vcc
	v_cmp_ne_u32_e64 s[0:1], 0, v10
	v_cmp_le_u32_e32 vcc, s19, v8
	v_cndmask_b32_e64 v10, v14, v12, s[0:1]
	v_cndmask_b32_e64 v12, 0, -1, vcc
	v_cmp_le_u32_e32 vcc, s18, v7
	v_cndmask_b32_e64 v7, 0, -1, vcc
	v_cmp_eq_u32_e32 vcc, s19, v8
	v_cndmask_b32_e32 v7, v12, v7, vcc
	v_cmp_ne_u32_e32 vcc, 0, v7
	v_cndmask_b32_e64 v7, v13, v11, s[0:1]
	v_cndmask_b32_e32 v8, v9, v10, vcc
	v_cndmask_b32_e32 v7, v4, v7, vcc
.LBB0_4:                                ;   in Loop: Header=BB0_2 Depth=1
	s_andn2_saveexec_b64 s[0:1], s[20:21]
	s_cbranch_execz .LBB0_6
; %bb.5:                                ;   in Loop: Header=BB0_2 Depth=1
	v_cvt_f32_u32_e32 v4, s18
	s_sub_i32 s20, 0, s18
	v_rcp_iflag_f32_e32 v4, v4
	v_mul_f32_e32 v4, 0x4f7ffffe, v4
	v_cvt_u32_f32_e32 v4, v4
	v_mul_lo_u32 v7, s20, v4
	v_mul_hi_u32 v7, v4, v7
	v_add_u32_e32 v4, v4, v7
	v_mul_hi_u32 v4, v5, v4
	v_mul_lo_u32 v7, v4, s18
	v_add_u32_e32 v8, 1, v4
	v_sub_u32_e32 v7, v5, v7
	v_subrev_u32_e32 v9, s18, v7
	v_cmp_le_u32_e32 vcc, s18, v7
	v_cndmask_b32_e32 v7, v7, v9, vcc
	v_cndmask_b32_e32 v4, v4, v8, vcc
	v_add_u32_e32 v8, 1, v4
	v_cmp_le_u32_e32 vcc, s18, v7
	v_cndmask_b32_e32 v7, v4, v8, vcc
	v_mov_b32_e32 v8, v3
.LBB0_6:                                ;   in Loop: Header=BB0_2 Depth=1
	s_or_b64 exec, exec, s[0:1]
	v_mul_lo_u32 v4, v8, s18
	v_mul_lo_u32 v11, v7, s19
	v_mad_u64_u32 v[9:10], s[0:1], v7, s18, 0
	s_load_dwordx2 s[0:1], s[6:7], 0x0
	s_add_u32 s16, s16, 1
	v_add3_u32 v4, v10, v11, v4
	v_sub_co_u32_e32 v5, vcc, v5, v9
	v_subb_co_u32_e32 v4, vcc, v6, v4, vcc
	s_waitcnt lgkmcnt(0)
	v_mul_lo_u32 v4, s0, v4
	v_mul_lo_u32 v6, s1, v5
	v_mad_u64_u32 v[1:2], s[0:1], s0, v5, v[1:2]
	s_addc_u32 s17, s17, 0
	s_add_u32 s6, s6, 8
	v_add3_u32 v2, v6, v2, v4
	v_mov_b32_e32 v4, s10
	v_mov_b32_e32 v5, s11
	s_addc_u32 s7, s7, 0
	v_cmp_ge_u64_e32 vcc, s[16:17], v[4:5]
	s_add_u32 s14, s14, 8
	s_addc_u32 s15, s15, 0
	s_cbranch_vccnz .LBB0_9
; %bb.7:                                ;   in Loop: Header=BB0_2 Depth=1
	v_mov_b32_e32 v5, v7
	v_mov_b32_e32 v6, v8
	s_branch .LBB0_2
.LBB0_8:
	v_mov_b32_e32 v8, v6
	v_mov_b32_e32 v7, v5
.LBB0_9:
	s_lshl_b64 s[0:1], s[10:11], 3
	s_add_u32 s0, s12, s0
	s_addc_u32 s1, s13, s1
	s_load_dwordx2 s[6:7], s[0:1], 0x0
	s_load_dwordx2 s[10:11], s[4:5], 0x20
                                        ; implicit-def: $vgpr6
                                        ; implicit-def: $vgpr11
                                        ; implicit-def: $vgpr5
	s_waitcnt lgkmcnt(0)
	v_mul_lo_u32 v3, s6, v8
	v_mul_lo_u32 v4, s7, v7
	v_mad_u64_u32 v[1:2], s[0:1], s6, v7, v[1:2]
	v_cmp_gt_u64_e32 vcc, s[10:11], v[7:8]
	v_cmp_le_u64_e64 s[0:1], s[10:11], v[7:8]
	v_add3_u32 v2, v4, v2, v3
                                        ; implicit-def: $vgpr3
                                        ; implicit-def: $vgpr8
                                        ; implicit-def: $vgpr4
                                        ; implicit-def: $vgpr7
	s_and_saveexec_b64 s[4:5], s[0:1]
	s_xor_b64 s[0:1], exec, s[4:5]
; %bb.10:
	v_or_b32_e32 v3, 0x80, v0
	v_or_b32_e32 v6, 0x100, v0
	;; [unrolled: 1-line block ×7, first 2 shown]
; %bb.11:
	s_or_saveexec_b64 s[4:5], s[0:1]
	v_lshlrev_b64 v[1:2], 3, v[1:2]
	v_lshlrev_b32_e32 v9, 3, v0
	s_xor_b64 exec, exec, s[4:5]
	s_cbranch_execz .LBB0_13
; %bb.12:
	v_mov_b32_e32 v3, s3
	v_add_co_u32_e64 v10, s[0:1], s2, v1
	v_addc_co_u32_e64 v25, s[0:1], v3, v2, s[0:1]
	v_add_co_u32_e64 v3, s[0:1], v10, v9
	v_addc_co_u32_e64 v4, s[0:1], 0, v25, s[0:1]
	v_or_b32_e32 v8, 0x200, v0
	global_load_dwordx2 v[12:13], v[3:4], off
	global_load_dwordx2 v[14:15], v[3:4], off offset:1024
	global_load_dwordx2 v[16:17], v[3:4], off offset:2048
	global_load_dwordx2 v[18:19], v[3:4], off offset:3072
	v_lshlrev_b32_e32 v3, 3, v8
	v_add_co_u32_e64 v5, s[0:1], v10, v3
	v_or_b32_e32 v4, 0x280, v0
	v_addc_co_u32_e64 v6, s[0:1], 0, v25, s[0:1]
	v_lshlrev_b32_e32 v3, 3, v4
	v_add_co_u32_e64 v20, s[0:1], v10, v3
	v_or_b32_e32 v11, 0x300, v0
	v_addc_co_u32_e64 v21, s[0:1], 0, v25, s[0:1]
	;; [unrolled: 4-line block ×3, first 2 shown]
	v_lshlrev_b32_e32 v34, 3, v7
	v_add_co_u32_e64 v24, s[0:1], v10, v34
	v_addc_co_u32_e64 v25, s[0:1], 0, v25, s[0:1]
	global_load_dwordx2 v[26:27], v[5:6], off
	global_load_dwordx2 v[28:29], v[20:21], off
	;; [unrolled: 1-line block ×4, first 2 shown]
	v_add_u32_e32 v10, 0, v9
	v_or_b32_e32 v3, 0x80, v0
	v_or_b32_e32 v6, 0x100, v0
	;; [unrolled: 1-line block ×3, first 2 shown]
	v_add_u32_e32 v20, 0, v34
	s_waitcnt vmcnt(6)
	ds_write2st64_b64 v10, v[12:13], v[14:15] offset1:2
	s_waitcnt vmcnt(4)
	ds_write2st64_b64 v10, v[16:17], v[18:19] offset0:4 offset1:6
	s_waitcnt vmcnt(2)
	ds_write2st64_b64 v10, v[26:27], v[28:29] offset0:8 offset1:10
	s_waitcnt vmcnt(1)
	ds_write_b64 v10, v[30:31] offset:6144
	s_waitcnt vmcnt(0)
	ds_write_b64 v20, v[32:33]
.LBB0_13:
	s_or_b64 exec, exec, s[4:5]
	v_add_u32_e32 v10, 0, v9
	s_waitcnt lgkmcnt(0)
	s_barrier
	ds_read2st64_b64 v[12:15], v10 offset1:2
	ds_read2st64_b64 v[16:19], v10 offset0:8 offset1:10
	s_movk_i32 s0, 0x3c0
	v_lshl_add_u32 v8, v8, 3, 0
	v_lshl_add_u32 v4, v4, 3, 0
	s_add_u32 s4, s8, 0x1fc0
	s_waitcnt lgkmcnt(0)
	v_sub_f32_e32 v24, v12, v16
	v_sub_f32_e32 v25, v13, v17
	;; [unrolled: 1-line block ×4, first 2 shown]
	ds_read2st64_b64 v[16:19], v10 offset0:4 offset1:6
	ds_read2st64_b64 v[20:23], v10 offset0:12 offset1:14
	v_fma_f32 v12, v12, 2.0, -v24
	v_fma_f32 v13, v13, 2.0, -v25
	;; [unrolled: 1-line block ×4, first 2 shown]
	s_waitcnt lgkmcnt(0)
	v_sub_f32_e32 v20, v16, v20
	v_sub_f32_e32 v21, v17, v21
	;; [unrolled: 1-line block ×4, first 2 shown]
	v_fma_f32 v16, v16, 2.0, -v20
	v_fma_f32 v17, v17, 2.0, -v21
	;; [unrolled: 1-line block ×4, first 2 shown]
	v_sub_f32_e32 v28, v12, v16
	v_sub_f32_e32 v29, v13, v17
	;; [unrolled: 1-line block ×4, first 2 shown]
	v_fma_f32 v16, v12, 2.0, -v28
	v_fma_f32 v17, v13, 2.0, -v29
	;; [unrolled: 1-line block ×4, first 2 shown]
	v_add_f32_e32 v32, v24, v21
	v_sub_f32_e32 v33, v25, v20
	v_sub_f32_e32 v12, v16, v12
	;; [unrolled: 1-line block ×3, first 2 shown]
	v_fma_f32 v18, v24, 2.0, -v32
	v_fma_f32 v19, v25, 2.0, -v33
	v_add_f32_e32 v23, v26, v23
	v_sub_f32_e32 v22, v27, v22
	v_fma_f32 v14, v16, 2.0, -v12
	v_fma_f32 v15, v17, 2.0, -v13
	;; [unrolled: 1-line block ×4, first 2 shown]
	v_mov_b32_e32 v16, v18
	v_mov_b32_e32 v17, v19
	v_fmac_f32_e32 v16, 0xbf3504f3, v20
	v_fmac_f32_e32 v17, 0xbf3504f3, v21
	;; [unrolled: 1-line block ×4, first 2 shown]
	v_mov_b32_e32 v20, v32
	v_mov_b32_e32 v21, v33
	v_fma_f32 v18, v18, 2.0, -v16
	v_fma_f32 v19, v19, 2.0, -v17
	v_mad_u32_u24 v24, v0, 56, v10
	v_fmac_f32_e32 v20, 0x3f3504f3, v23
	v_fmac_f32_e32 v21, 0x3f3504f3, v22
	s_barrier
	ds_write2_b64 v24, v[14:15], v[18:19] offset1:1
	v_add_f32_e32 v14, v28, v31
	v_sub_f32_e32 v15, v29, v30
	v_fmac_f32_e32 v20, 0x3f3504f3, v22
	v_fmac_f32_e32 v21, 0xbf3504f3, v23
	v_fma_f32 v18, v28, 2.0, -v14
	v_fma_f32 v19, v29, 2.0, -v15
	;; [unrolled: 1-line block ×4, first 2 shown]
	v_and_b32_e32 v26, 7, v0
	ds_write2_b64 v24, v[18:19], v[22:23] offset0:2 offset1:3
	ds_write2_b64 v24, v[12:13], v[16:17] offset0:4 offset1:5
	;; [unrolled: 1-line block ×3, first 2 shown]
	v_mul_u32_u24_e32 v12, 7, v26
	v_lshlrev_b32_e32 v27, 3, v12
	s_waitcnt lgkmcnt(0)
	s_barrier
	global_load_dwordx4 v[12:15], v27, s[8:9] offset:16
	global_load_dwordx4 v[20:23], v27, s[8:9]
	ds_read2st64_b64 v[16:19], v10 offset0:6 offset1:8
	s_addc_u32 s5, s9, 0
	s_waitcnt vmcnt(1) lgkmcnt(0)
	v_mul_f32_e32 v28, v13, v17
	v_mul_f32_e32 v13, v13, v16
	;; [unrolled: 1-line block ×4, first 2 shown]
	v_fmac_f32_e32 v28, v12, v16
	v_fma_f32 v30, v12, v17, -v13
	v_fmac_f32_e32 v29, v14, v18
	v_fma_f32 v31, v14, v19, -v15
	global_load_dwordx4 v[12:15], v27, s[8:9] offset:32
	global_load_dwordx2 v[24:25], v27, s[8:9] offset:48
	ds_read2st64_b64 v[16:19], v10 offset0:10 offset1:12
	s_waitcnt vmcnt(1) lgkmcnt(0)
	v_mul_f32_e32 v27, v13, v17
	v_mul_f32_e32 v13, v13, v16
	v_fmac_f32_e32 v27, v12, v16
	v_fma_f32 v32, v12, v17, -v13
	v_mul_f32_e32 v12, v15, v18
	v_mul_f32_e32 v33, v15, v19
	v_fma_f32 v19, v14, v19, -v12
	v_lshl_add_u32 v12, v3, 3, 0
	v_fmac_f32_e32 v33, v14, v18
	ds_read_b64 v[13:14], v12
	ds_read_b64 v[17:18], v10 offset:7168
	s_waitcnt lgkmcnt(1)
	v_mul_f32_e32 v34, v21, v14
	v_fmac_f32_e32 v34, v20, v13
	v_mul_f32_e32 v13, v21, v13
	v_fma_f32 v20, v20, v14, -v13
	ds_read2st64_b64 v[13:16], v10 offset1:4
	s_waitcnt vmcnt(0) lgkmcnt(0)
	s_barrier
	v_mul_f32_e32 v21, v23, v16
	v_fmac_f32_e32 v21, v22, v15
	v_mul_f32_e32 v15, v23, v15
	v_fma_f32 v15, v22, v16, -v15
	v_mul_f32_e32 v16, v18, v25
	v_fmac_f32_e32 v16, v17, v24
	v_mul_f32_e32 v17, v17, v25
	v_fma_f32 v17, v18, v24, -v17
	v_sub_f32_e32 v18, v13, v29
	v_sub_f32_e32 v22, v14, v31
	;; [unrolled: 1-line block ×6, first 2 shown]
	v_fma_f32 v14, v14, 2.0, -v22
	v_fma_f32 v15, v15, 2.0, -v19
	;; [unrolled: 1-line block ×5, first 2 shown]
	v_sub_f32_e32 v23, v21, v33
	v_sub_f32_e32 v24, v34, v27
	;; [unrolled: 1-line block ×4, first 2 shown]
	v_fma_f32 v13, v13, 2.0, -v18
	v_fma_f32 v21, v21, 2.0, -v23
	;; [unrolled: 1-line block ×5, first 2 shown]
	v_sub_f32_e32 v21, v13, v21
	v_sub_f32_e32 v32, v27, v16
	;; [unrolled: 1-line block ×3, first 2 shown]
	v_fma_f32 v15, v13, 2.0, -v21
	v_fma_f32 v13, v27, 2.0, -v32
	;; [unrolled: 1-line block ×3, first 2 shown]
	v_add_f32_e32 v27, v18, v19
	v_sub_f32_e32 v31, v22, v23
	v_fma_f32 v19, v18, 2.0, -v27
	v_fma_f32 v20, v22, 2.0, -v31
	v_add_f32_e32 v23, v24, v17
	v_sub_f32_e32 v29, v25, v29
	v_fma_f32 v22, v24, 2.0, -v23
	v_fma_f32 v24, v25, 2.0, -v29
	v_mov_b32_e32 v17, v19
	v_mov_b32_e32 v18, v20
	v_fmac_f32_e32 v17, 0xbf3504f3, v22
	v_fmac_f32_e32 v18, 0xbf3504f3, v24
	v_sub_f32_e32 v13, v15, v13
	v_fmac_f32_e32 v17, 0x3f3504f3, v24
	v_fmac_f32_e32 v18, 0xbf3504f3, v22
	v_and_or_b32 v22, v9, s0, v26
	v_fma_f32 v15, v15, 2.0, -v13
	v_fma_f32 v19, v19, 2.0, -v17
	;; [unrolled: 1-line block ×3, first 2 shown]
	v_lshl_add_u32 v25, v22, 3, 0
	ds_write2_b64 v25, v[15:16], v[19:20] offset1:8
	v_add_f32_e32 v15, v21, v28
	v_fma_f32 v19, v21, 2.0, -v15
	v_mov_b32_e32 v21, v27
	v_mov_b32_e32 v22, v31
	v_fmac_f32_e32 v21, 0x3f3504f3, v23
	v_fmac_f32_e32 v22, 0x3f3504f3, v29
	v_sub_f32_e32 v16, v30, v32
	v_fmac_f32_e32 v21, 0x3f3504f3, v29
	v_fmac_f32_e32 v22, 0xbf3504f3, v23
	v_fma_f32 v20, v30, 2.0, -v16
	v_fma_f32 v23, v27, 2.0, -v21
	;; [unrolled: 1-line block ×3, first 2 shown]
	v_and_b32_e32 v27, 63, v0
	ds_write2_b64 v25, v[19:20], v[23:24] offset0:16 offset1:24
	ds_write2_b64 v25, v[13:14], v[17:18] offset0:32 offset1:40
	;; [unrolled: 1-line block ×3, first 2 shown]
	v_mul_u32_u24_e32 v13, 3, v27
	v_lshlrev_b32_e32 v17, 3, v13
	s_waitcnt lgkmcnt(0)
	s_barrier
	global_load_dwordx4 v[13:16], v17, s[8:9] offset:448
	global_load_dwordx2 v[23:24], v17, s[8:9] offset:464
	ds_read2st64_b64 v[17:20], v10 offset0:6 offset1:8
	s_movk_i32 s0, 0x100
	s_waitcnt vmcnt(1) lgkmcnt(0)
	v_mul_f32_e32 v25, v16, v20
	v_mul_f32_e32 v28, v14, v18
	v_fmac_f32_e32 v25, v15, v19
	v_mul_f32_e32 v19, v16, v19
	v_fmac_f32_e32 v28, v13, v17
	v_mul_f32_e32 v17, v14, v17
	v_fma_f32 v26, v15, v20, -v19
	v_fma_f32 v29, v13, v18, -v17
	ds_read2st64_b64 v[17:20], v10 offset1:4
	s_waitcnt lgkmcnt(0)
	v_mul_f32_e32 v30, v14, v20
	v_mul_f32_e32 v14, v14, v19
	v_fmac_f32_e32 v30, v13, v19
	v_fma_f32 v13, v13, v20, -v14
	ds_read2st64_b64 v[19:22], v10 offset0:10 offset1:12
	s_waitcnt lgkmcnt(0)
	v_mul_f32_e32 v31, v16, v20
	v_mul_f32_e32 v14, v16, v19
	v_fmac_f32_e32 v31, v15, v19
	v_fma_f32 v32, v15, v20, -v14
	s_waitcnt vmcnt(0)
	v_mul_f32_e32 v14, v24, v22
	v_mul_f32_e32 v15, v24, v21
	v_fmac_f32_e32 v14, v23, v21
	v_fma_f32 v15, v23, v22, -v15
	v_sub_f32_e32 v19, v17, v25
	v_sub_f32_e32 v20, v18, v26
	v_fma_f32 v16, v17, 2.0, -v19
	v_fma_f32 v17, v18, 2.0, -v20
	v_sub_f32_e32 v18, v30, v14
	v_sub_f32_e32 v21, v13, v15
	v_fma_f32 v14, v30, 2.0, -v18
	v_fma_f32 v15, v13, 2.0, -v21
	;; [unrolled: 4-line block ×3, first 2 shown]
	v_add_f32_e32 v17, v19, v21
	ds_read_b64 v[21:22], v10 offset:7168
	ds_read_b64 v[25:26], v12
	v_lshlrev_b32_e32 v30, 2, v0
	v_sub_f32_e32 v18, v20, v18
	v_and_or_b32 v30, v30, s0, v27
	v_fma_f32 v19, v19, 2.0, -v17
	v_fma_f32 v20, v20, 2.0, -v18
	v_lshl_add_u32 v30, v30, 3, 0
	s_waitcnt lgkmcnt(0)
	s_barrier
	ds_write2st64_b64 v30, v[15:16], v[19:20] offset1:1
	ds_write2st64_b64 v30, v[13:14], v[17:18] offset0:2 offset1:3
	v_mul_f32_e32 v13, v24, v22
	v_mul_f32_e32 v14, v24, v21
	v_fmac_f32_e32 v13, v23, v21
	v_fma_f32 v14, v23, v22, -v14
	v_sub_f32_e32 v19, v25, v31
	v_sub_f32_e32 v20, v26, v32
	;; [unrolled: 1-line block ×4, first 2 shown]
	v_fma_f32 v15, v25, 2.0, -v19
	v_fma_f32 v16, v26, 2.0, -v20
	;; [unrolled: 1-line block ×4, first 2 shown]
	s_movk_i32 s0, 0x300
	v_lshlrev_b32_e32 v21, 2, v3
	v_sub_f32_e32 v13, v15, v13
	v_sub_f32_e32 v14, v16, v14
	v_add_f32_e32 v17, v19, v17
	v_sub_f32_e32 v18, v20, v18
	v_and_or_b32 v21, v21, s0, v27
	v_fma_f32 v15, v15, 2.0, -v13
	v_fma_f32 v16, v16, 2.0, -v14
	;; [unrolled: 1-line block ×4, first 2 shown]
	v_lshl_add_u32 v21, v21, 3, 0
	ds_write2st64_b64 v21, v[15:16], v[19:20] offset1:1
	ds_write2st64_b64 v21, v[13:14], v[17:18] offset0:2 offset1:3
	v_mul_u32_u24_e32 v13, 3, v0
	v_lshlrev_b32_e32 v23, 3, v13
	v_mul_i32_i24_e32 v13, 3, v3
	v_mov_b32_e32 v14, 0
	v_lshlrev_b64 v[13:14], 3, v[13:14]
	s_waitcnt lgkmcnt(0)
	s_barrier
	global_load_dwordx2 v[25:26], v23, s[8:9] offset:2000
	v_mov_b32_e32 v15, s9
	v_add_co_u32_e64 v21, s[0:1], s8, v13
	v_addc_co_u32_e64 v22, s[0:1], v15, v14, s[0:1]
	global_load_dwordx4 v[13:16], v[21:22], off offset:1984
	global_load_dwordx4 v[17:20], v23, s[8:9] offset:1984
	global_load_dwordx2 v[27:28], v[21:22], off offset:2000
	ds_read2st64_b64 v[21:24], v10 offset0:10 offset1:12
	v_cmp_ne_u32_e64 s[0:1], 0, v0
	s_waitcnt vmcnt(3) lgkmcnt(0)
	v_mul_f32_e32 v29, v26, v24
	v_fmac_f32_e32 v29, v25, v23
	v_mul_f32_e32 v23, v26, v23
	v_fma_f32 v25, v25, v24, -v23
	s_waitcnt vmcnt(2)
	v_mul_f32_e32 v26, v16, v22
	v_mul_f32_e32 v16, v16, v21
	v_fmac_f32_e32 v26, v15, v21
	v_fma_f32 v30, v15, v22, -v16
	ds_read2st64_b64 v[21:24], v10 offset0:6 offset1:8
	s_waitcnt lgkmcnt(0)
	v_mul_f32_e32 v31, v14, v22
	v_mul_f32_e32 v14, v14, v21
	v_fmac_f32_e32 v31, v13, v21
	v_fma_f32 v22, v13, v22, -v14
	s_waitcnt vmcnt(1)
	v_mul_f32_e32 v21, v20, v24
	v_mul_f32_e32 v13, v20, v23
	v_fmac_f32_e32 v21, v19, v23
	v_fma_f32 v19, v19, v24, -v13
	ds_read2st64_b64 v[13:16], v10 offset1:4
	s_waitcnt lgkmcnt(0)
	v_mul_f32_e32 v20, v18, v16
	v_fmac_f32_e32 v20, v17, v15
	v_mul_f32_e32 v15, v18, v15
	v_fma_f32 v17, v17, v16, -v15
	v_add_u32_e32 v15, 0x1c00, v10
	ds_read2_b32 v[15:16], v15 offset1:1
	v_sub_f32_e32 v25, v17, v25
	v_sub_f32_e32 v21, v13, v21
	v_fma_f32 v13, v13, 2.0, -v21
	s_waitcnt vmcnt(0) lgkmcnt(0)
	v_mul_f32_e32 v23, v16, v28
	v_fmac_f32_e32 v23, v27, v15
	v_mul_f32_e32 v15, v28, v15
	v_fma_f32 v24, v16, v27, -v15
	v_sub_f32_e32 v27, v14, v19
	v_fma_f32 v18, v14, 2.0, -v27
	v_sub_f32_e32 v28, v20, v29
	v_fma_f32 v15, v17, 2.0, -v25
	v_fma_f32 v14, v20, 2.0, -v28
	v_sub_f32_e32 v15, v18, v15
	v_sub_f32_e32 v14, v13, v14
	v_fma_f32 v17, v18, 2.0, -v15
	ds_read_b64 v[18:19], v12
	v_fma_f32 v16, v13, 2.0, -v14
	s_waitcnt lgkmcnt(0)
	s_barrier
	ds_write_b64 v10, v[16:17]
	v_add_f32_e32 v16, v21, v25
	v_sub_f32_e32 v17, v27, v28
	v_fma_f32 v20, v21, 2.0, -v16
	v_fma_f32 v21, v27, 2.0, -v17
	v_lshl_add_u32 v13, v6, 3, 0
	ds_write_b64 v13, v[20:21]
	ds_write_b64 v8, v[14:15]
	v_lshl_add_u32 v8, v11, 3, 0
	ds_write_b64 v8, v[16:17]
	v_sub_f32_e32 v8, v18, v26
	v_sub_f32_e32 v11, v19, v30
	v_fma_f32 v16, v18, 2.0, -v8
	v_fma_f32 v17, v19, 2.0, -v11
	v_sub_f32_e32 v19, v31, v23
	v_sub_f32_e32 v18, v22, v24
	v_fma_f32 v14, v31, 2.0, -v19
	v_fma_f32 v15, v22, 2.0, -v18
	v_sub_f32_e32 v14, v16, v14
	v_sub_f32_e32 v15, v17, v15
	v_add_f32_e32 v18, v8, v18
	v_sub_f32_e32 v19, v11, v19
	v_fma_f32 v16, v16, 2.0, -v14
	v_fma_f32 v17, v17, 2.0, -v15
	v_fma_f32 v20, v8, 2.0, -v18
	v_fma_f32 v21, v11, 2.0, -v19
	v_lshl_add_u32 v11, v5, 3, 0
	ds_write_b64 v12, v[16:17]
	ds_write_b64 v11, v[20:21]
	;; [unrolled: 1-line block ×3, first 2 shown]
	v_lshl_add_u32 v4, v7, 3, 0
	ds_write_b64 v4, v[18:19]
	s_waitcnt lgkmcnt(0)
	s_barrier
	ds_read_b64 v[7:8], v10
	v_sub_u32_e32 v14, 0, v9
                                        ; implicit-def: $vgpr16
                                        ; implicit-def: $vgpr15
	s_and_saveexec_b64 s[6:7], s[0:1]
	s_xor_b64 s[0:1], exec, s[6:7]
	s_cbranch_execz .LBB0_15
; %bb.14:
	global_load_dwordx2 v[16:17], v9, s[4:5]
	ds_read_b64 v[18:19], v14 offset:8192
	s_waitcnt lgkmcnt(0)
	v_add_f32_e32 v4, v18, v7
	v_add_f32_e32 v15, v19, v8
	v_sub_f32_e32 v7, v7, v18
	v_sub_f32_e32 v8, v8, v19
	v_mul_f32_e32 v18, 0.5, v15
	v_mul_f32_e32 v7, 0.5, v7
	;; [unrolled: 1-line block ×3, first 2 shown]
	s_waitcnt vmcnt(0)
	v_mul_f32_e32 v19, v17, v7
	v_fma_f32 v20, v18, v17, v8
	v_fma_f32 v8, v18, v17, -v8
	v_fma_f32 v15, 0.5, v4, v19
	v_fma_f32 v17, -v16, v7, v20
	v_fma_f32 v4, v4, 0.5, -v19
	v_fma_f32 v7, -v16, v7, v8
	v_fmac_f32_e32 v15, v16, v18
	ds_write_b32 v10, v17 offset:4
	v_fma_f32 v16, -v16, v18, v4
	ds_write_b32 v14, v7 offset:8196
                                        ; implicit-def: $vgpr7_vgpr8
.LBB0_15:
	s_andn2_saveexec_b64 s[0:1], s[0:1]
	s_cbranch_execz .LBB0_17
; %bb.16:
	v_mov_b32_e32 v4, 0
	ds_write_b32 v10, v4 offset:4
	ds_write_b32 v14, v4 offset:8196
	ds_read_b32 v17, v4 offset:4100
	s_waitcnt lgkmcnt(3)
	v_add_f32_e32 v15, v7, v8
	v_sub_f32_e32 v16, v7, v8
	s_waitcnt lgkmcnt(0)
	v_xor_b32_e32 v7, 0x80000000, v17
	ds_write_b32 v4, v7 offset:4100
.LBB0_17:
	s_or_b64 exec, exec, s[0:1]
	v_mov_b32_e32 v4, 0
	s_waitcnt lgkmcnt(0)
	v_lshlrev_b64 v[7:8], 3, v[3:4]
	v_mov_b32_e32 v3, s5
	v_add_co_u32_e64 v7, s[0:1], s4, v7
	v_addc_co_u32_e64 v8, s[0:1], v3, v8, s[0:1]
	global_load_dwordx2 v[17:18], v[7:8], off
	v_mov_b32_e32 v7, v4
	v_lshlrev_b64 v[6:7], 3, v[6:7]
	v_mov_b32_e32 v19, s5
	v_add_co_u32_e64 v6, s[0:1], s4, v6
	v_addc_co_u32_e64 v7, s[0:1], v3, v7, s[0:1]
	global_load_dwordx2 v[7:8], v[6:7], off
	v_mov_b32_e32 v6, v4
	v_lshlrev_b64 v[3:4], 3, v[5:6]
	v_add_co_u32_e64 v3, s[0:1], s4, v3
	v_addc_co_u32_e64 v4, s[0:1], v19, v4, s[0:1]
	global_load_dwordx2 v[3:4], v[3:4], off
	ds_write_b32 v10, v15
	ds_write_b32 v14, v16 offset:8192
	ds_read_b64 v[5:6], v12
	ds_read_b64 v[15:16], v14 offset:7168
	s_waitcnt lgkmcnt(0)
	v_add_f32_e32 v19, v5, v15
	v_sub_f32_e32 v5, v5, v15
	v_add_f32_e32 v20, v6, v16
	v_sub_f32_e32 v6, v6, v16
	v_mul_f32_e32 v5, 0.5, v5
	v_mul_f32_e32 v15, 0.5, v20
	v_mul_f32_e32 v6, 0.5, v6
	s_waitcnt vmcnt(2)
	v_mul_f32_e32 v16, v18, v5
	v_fma_f32 v20, v15, v18, v6
	v_fma_f32 v6, v15, v18, -v6
	v_fma_f32 v18, 0.5, v19, v16
	v_fma_f32 v20, -v17, v5, v20
	v_fma_f32 v16, v19, 0.5, -v16
	v_fmac_f32_e32 v18, v17, v15
	v_fma_f32 v6, -v17, v5, v6
	v_fma_f32 v5, -v17, v15, v16
	ds_write2_b32 v12, v18, v20 offset1:1
	ds_write_b64 v14, v[5:6] offset:7168
	ds_read_b64 v[5:6], v13
	ds_read_b64 v[15:16], v14 offset:6144
	s_waitcnt lgkmcnt(0)
	v_add_f32_e32 v12, v5, v15
	v_sub_f32_e32 v5, v5, v15
	v_add_f32_e32 v17, v6, v16
	v_sub_f32_e32 v6, v6, v16
	v_mul_f32_e32 v5, 0.5, v5
	v_mul_f32_e32 v15, 0.5, v17
	v_mul_f32_e32 v6, 0.5, v6
	s_waitcnt vmcnt(1)
	v_mul_f32_e32 v16, v8, v5
	v_fma_f32 v17, v15, v8, v6
	v_fma_f32 v6, v15, v8, -v6
	v_fma_f32 v8, 0.5, v12, v16
	v_fma_f32 v17, -v7, v5, v17
	v_fma_f32 v12, v12, 0.5, -v16
	v_fmac_f32_e32 v8, v7, v15
	v_fma_f32 v6, -v7, v5, v6
	v_fma_f32 v5, -v7, v15, v12
	ds_write2_b32 v13, v8, v17 offset1:1
	ds_write_b64 v14, v[5:6] offset:6144
	;; [unrolled: 22-line block ×3, first 2 shown]
	s_waitcnt lgkmcnt(0)
	s_barrier
	s_and_saveexec_b64 s[0:1], vcc
	s_cbranch_execz .LBB0_20
; %bb.18:
	ds_read2st64_b64 v[4:7], v10 offset1:2
	v_mov_b32_e32 v8, s3
	v_add_co_u32_e32 v3, vcc, s2, v1
	v_addc_co_u32_e32 v1, vcc, v8, v2, vcc
	ds_read2st64_b64 v[11:14], v10 offset0:4 offset1:6
	v_add_co_u32_e32 v15, vcc, v3, v9
	v_addc_co_u32_e32 v16, vcc, 0, v1, vcc
	s_waitcnt lgkmcnt(1)
	global_store_dwordx2 v[15:16], v[4:5], off
	global_store_dwordx2 v[15:16], v[6:7], off offset:1024
	s_waitcnt lgkmcnt(0)
	global_store_dwordx2 v[15:16], v[11:12], off offset:2048
	global_store_dwordx2 v[15:16], v[13:14], off offset:3072
	ds_read2st64_b64 v[4:7], v10 offset0:8 offset1:10
	v_or_b32_e32 v2, 0x1000, v9
	v_add_co_u32_e32 v11, vcc, v3, v2
	v_addc_co_u32_e32 v12, vcc, 0, v1, vcc
	v_or_b32_e32 v2, 0x1400, v9
	s_waitcnt lgkmcnt(0)
	global_store_dwordx2 v[11:12], v[4:5], off
	v_add_co_u32_e32 v4, vcc, v3, v2
	v_addc_co_u32_e32 v5, vcc, 0, v1, vcc
	v_or_b32_e32 v2, 0x1800, v9
	global_store_dwordx2 v[4:5], v[6:7], off
	v_add_co_u32_e32 v4, vcc, v3, v2
	ds_read_b64 v[6:7], v10 offset:6144
	v_mov_b32_e32 v2, 0x1c00
	v_lshl_or_b32 v2, v0, 3, v2
	v_add_u32_e32 v8, 0, v2
	ds_read_b64 v[8:9], v8
	v_addc_co_u32_e32 v5, vcc, 0, v1, vcc
	s_waitcnt lgkmcnt(1)
	global_store_dwordx2 v[4:5], v[6:7], off
	v_add_co_u32_e32 v4, vcc, v3, v2
	v_addc_co_u32_e32 v5, vcc, 0, v1, vcc
	s_movk_i32 s0, 0x7f
	v_cmp_eq_u32_e32 vcc, s0, v0
	s_waitcnt lgkmcnt(0)
	global_store_dwordx2 v[4:5], v[8:9], off
	s_and_b64 exec, exec, vcc
	s_cbranch_execz .LBB0_20
; %bb.19:
	v_mov_b32_e32 v0, 0
	ds_read_b64 v[4:5], v0 offset:8192
	v_add_co_u32_e32 v0, vcc, 0x2000, v3
	v_addc_co_u32_e32 v1, vcc, 0, v1, vcc
	s_waitcnt lgkmcnt(0)
	global_store_dwordx2 v[0:1], v[4:5], off
.LBB0_20:
	s_endpgm
	.section	.rodata,"a",@progbits
	.p2align	6, 0x0
	.amdhsa_kernel fft_rtc_back_len1024_factors_8_8_4_4_wgs_128_tpt_128_halfLds_sp_ip_CI_unitstride_sbrr_R2C_dirReg
		.amdhsa_group_segment_fixed_size 0
		.amdhsa_private_segment_fixed_size 0
		.amdhsa_kernarg_size 88
		.amdhsa_user_sgpr_count 6
		.amdhsa_user_sgpr_private_segment_buffer 1
		.amdhsa_user_sgpr_dispatch_ptr 0
		.amdhsa_user_sgpr_queue_ptr 0
		.amdhsa_user_sgpr_kernarg_segment_ptr 1
		.amdhsa_user_sgpr_dispatch_id 0
		.amdhsa_user_sgpr_flat_scratch_init 0
		.amdhsa_user_sgpr_private_segment_size 0
		.amdhsa_uses_dynamic_stack 0
		.amdhsa_system_sgpr_private_segment_wavefront_offset 0
		.amdhsa_system_sgpr_workgroup_id_x 1
		.amdhsa_system_sgpr_workgroup_id_y 0
		.amdhsa_system_sgpr_workgroup_id_z 0
		.amdhsa_system_sgpr_workgroup_info 0
		.amdhsa_system_vgpr_workitem_id 0
		.amdhsa_next_free_vgpr 35
		.amdhsa_next_free_sgpr 22
		.amdhsa_reserve_vcc 1
		.amdhsa_reserve_flat_scratch 0
		.amdhsa_float_round_mode_32 0
		.amdhsa_float_round_mode_16_64 0
		.amdhsa_float_denorm_mode_32 3
		.amdhsa_float_denorm_mode_16_64 3
		.amdhsa_dx10_clamp 1
		.amdhsa_ieee_mode 1
		.amdhsa_fp16_overflow 0
		.amdhsa_exception_fp_ieee_invalid_op 0
		.amdhsa_exception_fp_denorm_src 0
		.amdhsa_exception_fp_ieee_div_zero 0
		.amdhsa_exception_fp_ieee_overflow 0
		.amdhsa_exception_fp_ieee_underflow 0
		.amdhsa_exception_fp_ieee_inexact 0
		.amdhsa_exception_int_div_zero 0
	.end_amdhsa_kernel
	.text
.Lfunc_end0:
	.size	fft_rtc_back_len1024_factors_8_8_4_4_wgs_128_tpt_128_halfLds_sp_ip_CI_unitstride_sbrr_R2C_dirReg, .Lfunc_end0-fft_rtc_back_len1024_factors_8_8_4_4_wgs_128_tpt_128_halfLds_sp_ip_CI_unitstride_sbrr_R2C_dirReg
                                        ; -- End function
	.section	.AMDGPU.csdata,"",@progbits
; Kernel info:
; codeLenInByte = 4744
; NumSgprs: 26
; NumVgprs: 35
; ScratchSize: 0
; MemoryBound: 0
; FloatMode: 240
; IeeeMode: 1
; LDSByteSize: 0 bytes/workgroup (compile time only)
; SGPRBlocks: 3
; VGPRBlocks: 8
; NumSGPRsForWavesPerEU: 26
; NumVGPRsForWavesPerEU: 35
; Occupancy: 7
; WaveLimiterHint : 1
; COMPUTE_PGM_RSRC2:SCRATCH_EN: 0
; COMPUTE_PGM_RSRC2:USER_SGPR: 6
; COMPUTE_PGM_RSRC2:TRAP_HANDLER: 0
; COMPUTE_PGM_RSRC2:TGID_X_EN: 1
; COMPUTE_PGM_RSRC2:TGID_Y_EN: 0
; COMPUTE_PGM_RSRC2:TGID_Z_EN: 0
; COMPUTE_PGM_RSRC2:TIDIG_COMP_CNT: 0
	.type	__hip_cuid_42e1a8f03753548a,@object ; @__hip_cuid_42e1a8f03753548a
	.section	.bss,"aw",@nobits
	.globl	__hip_cuid_42e1a8f03753548a
__hip_cuid_42e1a8f03753548a:
	.byte	0                               ; 0x0
	.size	__hip_cuid_42e1a8f03753548a, 1

	.ident	"AMD clang version 19.0.0git (https://github.com/RadeonOpenCompute/llvm-project roc-6.4.0 25133 c7fe45cf4b819c5991fe208aaa96edf142730f1d)"
	.section	".note.GNU-stack","",@progbits
	.addrsig
	.addrsig_sym __hip_cuid_42e1a8f03753548a
	.amdgpu_metadata
---
amdhsa.kernels:
  - .args:
      - .actual_access:  read_only
        .address_space:  global
        .offset:         0
        .size:           8
        .value_kind:     global_buffer
      - .offset:         8
        .size:           8
        .value_kind:     by_value
      - .actual_access:  read_only
        .address_space:  global
        .offset:         16
        .size:           8
        .value_kind:     global_buffer
      - .actual_access:  read_only
        .address_space:  global
        .offset:         24
        .size:           8
        .value_kind:     global_buffer
      - .offset:         32
        .size:           8
        .value_kind:     by_value
      - .actual_access:  read_only
        .address_space:  global
        .offset:         40
        .size:           8
        .value_kind:     global_buffer
      - .actual_access:  read_only
        .address_space:  global
        .offset:         48
        .size:           8
        .value_kind:     global_buffer
      - .offset:         56
        .size:           4
        .value_kind:     by_value
      - .actual_access:  read_only
        .address_space:  global
        .offset:         64
        .size:           8
        .value_kind:     global_buffer
      - .actual_access:  read_only
        .address_space:  global
        .offset:         72
        .size:           8
        .value_kind:     global_buffer
      - .address_space:  global
        .offset:         80
        .size:           8
        .value_kind:     global_buffer
    .group_segment_fixed_size: 0
    .kernarg_segment_align: 8
    .kernarg_segment_size: 88
    .language:       OpenCL C
    .language_version:
      - 2
      - 0
    .max_flat_workgroup_size: 128
    .name:           fft_rtc_back_len1024_factors_8_8_4_4_wgs_128_tpt_128_halfLds_sp_ip_CI_unitstride_sbrr_R2C_dirReg
    .private_segment_fixed_size: 0
    .sgpr_count:     26
    .sgpr_spill_count: 0
    .symbol:         fft_rtc_back_len1024_factors_8_8_4_4_wgs_128_tpt_128_halfLds_sp_ip_CI_unitstride_sbrr_R2C_dirReg.kd
    .uniform_work_group_size: 1
    .uses_dynamic_stack: false
    .vgpr_count:     35
    .vgpr_spill_count: 0
    .wavefront_size: 64
amdhsa.target:   amdgcn-amd-amdhsa--gfx906
amdhsa.version:
  - 1
  - 2
...

	.end_amdgpu_metadata
